;; amdgpu-corpus repo=ROCm/rocFFT kind=compiled arch=gfx906 opt=O3
	.text
	.amdgcn_target "amdgcn-amd-amdhsa--gfx906"
	.amdhsa_code_object_version 6
	.protected	fft_rtc_back_len100_factors_5_5_4_wgs_200_tpt_25_halfLds_half_ip_CI_sbcc_twdbase6_3step_dirReg_intrinsicReadWrite ; -- Begin function fft_rtc_back_len100_factors_5_5_4_wgs_200_tpt_25_halfLds_half_ip_CI_sbcc_twdbase6_3step_dirReg_intrinsicReadWrite
	.globl	fft_rtc_back_len100_factors_5_5_4_wgs_200_tpt_25_halfLds_half_ip_CI_sbcc_twdbase6_3step_dirReg_intrinsicReadWrite
	.p2align	8
	.type	fft_rtc_back_len100_factors_5_5_4_wgs_200_tpt_25_halfLds_half_ip_CI_sbcc_twdbase6_3step_dirReg_intrinsicReadWrite,@function
fft_rtc_back_len100_factors_5_5_4_wgs_200_tpt_25_halfLds_half_ip_CI_sbcc_twdbase6_3step_dirReg_intrinsicReadWrite: ; @fft_rtc_back_len100_factors_5_5_4_wgs_200_tpt_25_halfLds_half_ip_CI_sbcc_twdbase6_3step_dirReg_intrinsicReadWrite
; %bb.0:
	s_load_dwordx8 s[8:15], s[4:5], 0x8
	s_movk_i32 s0, 0xc0
	v_cmp_gt_u32_e32 vcc, s0, v0
	s_and_saveexec_b64 s[0:1], vcc
	s_cbranch_execz .LBB0_2
; %bb.1:
	v_lshlrev_b32_e32 v1, 2, v0
	s_waitcnt lgkmcnt(0)
	global_load_dword v2, v1, s[8:9]
	v_add_u32_e32 v1, 0, v1
	s_waitcnt vmcnt(0)
	ds_write_b32 v1, v2 offset:1600
.LBB0_2:
	s_or_b64 exec, exec, s[0:1]
	s_waitcnt lgkmcnt(0)
	s_load_dwordx2 s[22:23], s[12:13], 0x8
	s_mov_b32 s7, 0
	s_mov_b64 s[24:25], 0
	s_waitcnt lgkmcnt(0)
	s_add_u32 s0, s22, -1
	s_addc_u32 s1, s23, -1
	s_lshr_b64 s[0:1], s[0:1], 3
	s_add_u32 s2, s0, 1
	s_addc_u32 s3, s1, 0
	v_mov_b32_e32 v1, s2
	v_mov_b32_e32 v2, s3
	v_cmp_lt_u64_e32 vcc, s[6:7], v[1:2]
	s_cbranch_vccnz .LBB0_4
; %bb.3:
	v_cvt_f32_u32_e32 v1, s2
	s_sub_i32 s0, 0, s2
	s_mov_b32 s25, s7
	v_rcp_iflag_f32_e32 v1, v1
	v_mul_f32_e32 v1, 0x4f7ffffe, v1
	v_cvt_u32_f32_e32 v1, v1
	v_readfirstlane_b32 s1, v1
	s_mul_i32 s0, s0, s1
	s_mul_hi_u32 s0, s1, s0
	s_add_i32 s1, s1, s0
	s_mul_hi_u32 s0, s6, s1
	s_mul_i32 s8, s0, s2
	s_sub_i32 s8, s6, s8
	s_add_i32 s1, s0, 1
	s_sub_i32 s9, s8, s2
	s_cmp_ge_u32 s8, s2
	s_cselect_b32 s0, s1, s0
	s_cselect_b32 s8, s9, s8
	s_add_i32 s1, s0, 1
	s_cmp_ge_u32 s8, s2
	s_cselect_b32 s24, s1, s0
.LBB0_4:
	s_load_dwordx4 s[16:19], s[14:15], 0x0
	s_mul_i32 s0, s24, s3
	s_mul_hi_u32 s1, s24, s2
	s_add_i32 s1, s1, s0
	s_mul_i32 s0, s24, s2
	s_sub_u32 s0, s6, s0
	s_subb_u32 s1, 0, s1
	v_mov_b32_e32 v1, s0
	v_alignbit_b32 v1, s1, v1, 29
	s_waitcnt lgkmcnt(0)
	v_mul_lo_u32 v1, s18, v1
	s_load_dwordx2 s[8:9], s[4:5], 0x58
	s_load_dwordx2 s[20:21], s[4:5], 0x0
	s_lshl_b64 s[4:5], s[0:1], 3
	s_mul_hi_u32 s0, s18, s4
	v_add_u32_e32 v1, s0, v1
	s_mul_i32 s0, s19, s4
	v_add_u32_e32 v3, s0, v1
	v_cmp_lt_u64_e64 s[0:1], s[10:11], 3
	s_mul_i32 s17, s18, s4
	v_mov_b32_e32 v5, s17
	s_and_b64 vcc, exec, s[0:1]
	s_cbranch_vccnz .LBB0_11
; %bb.5:
	s_add_u32 s26, s14, 16
	s_addc_u32 s27, s15, 0
	s_add_u32 s12, s12, 16
	v_mov_b32_e32 v1, s10
	s_addc_u32 s13, s13, 0
	s_mov_b64 s[28:29], 2
	s_mov_b32 s30, 0
	v_mov_b32_e32 v2, s11
	s_branch .LBB0_7
.LBB0_6:                                ;   in Loop: Header=BB0_7 Depth=1
	s_mul_i32 s3, s34, s3
	s_mul_hi_u32 s17, s34, s2
	s_add_i32 s3, s17, s3
	s_mul_i32 s17, s35, s2
	s_add_i32 s3, s3, s17
	s_mul_i32 s17, s0, s35
	s_mul_hi_u32 s19, s0, s34
	s_load_dwordx2 s[36:37], s[26:27], 0x0
	s_add_i32 s17, s19, s17
	s_mul_i32 s19, s1, s34
	s_add_i32 s17, s17, s19
	s_mul_i32 s19, s0, s34
	s_sub_u32 s19, s24, s19
	s_subb_u32 s17, s25, s17
	s_waitcnt lgkmcnt(0)
	s_mul_i32 s17, s36, s17
	s_mul_hi_u32 s24, s36, s19
	s_add_i32 s17, s24, s17
	s_mul_i32 s24, s37, s19
	s_add_i32 s17, s17, s24
	s_mul_i32 s19, s36, s19
	s_add_u32 s28, s28, 1
	v_mov_b32_e32 v4, s17
	v_add_co_u32_e32 v5, vcc, s19, v5
	s_addc_u32 s29, s29, 0
	v_addc_co_u32_e32 v3, vcc, v4, v3, vcc
	s_add_u32 s26, s26, 8
	s_addc_u32 s27, s27, 0
	v_cmp_ge_u64_e32 vcc, s[28:29], v[1:2]
	s_add_u32 s12, s12, 8
	s_mul_i32 s2, s34, s2
	s_addc_u32 s13, s13, 0
	s_mov_b64 s[24:25], s[0:1]
	s_cbranch_vccnz .LBB0_12
.LBB0_7:                                ; =>This Inner Loop Header: Depth=1
	s_load_dwordx2 s[34:35], s[12:13], 0x0
	s_waitcnt lgkmcnt(0)
	s_or_b64 s[0:1], s[24:25], s[34:35]
	s_mov_b32 s31, s1
	s_cmp_lg_u64 s[30:31], 0
	s_cbranch_scc0 .LBB0_9
; %bb.8:                                ;   in Loop: Header=BB0_7 Depth=1
	v_cvt_f32_u32_e32 v4, s34
	v_cvt_f32_u32_e32 v6, s35
	s_sub_u32 s0, 0, s34
	s_subb_u32 s1, 0, s35
	v_mac_f32_e32 v4, 0x4f800000, v6
	v_rcp_f32_e32 v4, v4
	v_mul_f32_e32 v4, 0x5f7ffffc, v4
	v_mul_f32_e32 v6, 0x2f800000, v4
	v_trunc_f32_e32 v6, v6
	v_mac_f32_e32 v4, 0xcf800000, v6
	v_cvt_u32_f32_e32 v6, v6
	v_cvt_u32_f32_e32 v4, v4
	v_readfirstlane_b32 s17, v6
	v_readfirstlane_b32 s19, v4
	s_mul_i32 s31, s0, s17
	s_mul_hi_u32 s36, s0, s19
	s_mul_i32 s33, s1, s19
	s_add_i32 s31, s36, s31
	s_mul_i32 s37, s0, s19
	s_add_i32 s31, s31, s33
	s_mul_hi_u32 s33, s19, s31
	s_mul_i32 s36, s19, s31
	s_mul_hi_u32 s19, s19, s37
	s_add_u32 s19, s19, s36
	s_addc_u32 s33, 0, s33
	s_mul_hi_u32 s38, s17, s37
	s_mul_i32 s37, s17, s37
	s_add_u32 s19, s19, s37
	s_mul_hi_u32 s36, s17, s31
	s_addc_u32 s19, s33, s38
	s_addc_u32 s33, s36, 0
	s_mul_i32 s31, s17, s31
	s_add_u32 s19, s19, s31
	s_addc_u32 s31, 0, s33
	v_add_co_u32_e32 v4, vcc, s19, v4
	s_cmp_lg_u64 vcc, 0
	s_addc_u32 s17, s17, s31
	v_readfirstlane_b32 s31, v4
	s_mul_i32 s19, s0, s17
	s_mul_hi_u32 s33, s0, s31
	s_add_i32 s19, s33, s19
	s_mul_i32 s1, s1, s31
	s_add_i32 s19, s19, s1
	s_mul_i32 s0, s0, s31
	s_mul_hi_u32 s33, s17, s0
	s_mul_i32 s36, s17, s0
	s_mul_i32 s38, s31, s19
	s_mul_hi_u32 s0, s31, s0
	s_mul_hi_u32 s37, s31, s19
	s_add_u32 s0, s0, s38
	s_addc_u32 s31, 0, s37
	s_add_u32 s0, s0, s36
	s_mul_hi_u32 s1, s17, s19
	s_addc_u32 s0, s31, s33
	s_addc_u32 s1, s1, 0
	s_mul_i32 s19, s17, s19
	s_add_u32 s0, s0, s19
	s_addc_u32 s1, 0, s1
	v_add_co_u32_e32 v4, vcc, s0, v4
	s_cmp_lg_u64 vcc, 0
	s_addc_u32 s0, s17, s1
	v_readfirstlane_b32 s19, v4
	s_mul_i32 s17, s24, s0
	s_mul_hi_u32 s31, s24, s19
	s_mul_hi_u32 s1, s24, s0
	s_add_u32 s17, s31, s17
	s_addc_u32 s1, 0, s1
	s_mul_hi_u32 s33, s25, s19
	s_mul_i32 s19, s25, s19
	s_add_u32 s17, s17, s19
	s_mul_hi_u32 s31, s25, s0
	s_addc_u32 s1, s1, s33
	s_addc_u32 s17, s31, 0
	s_mul_i32 s0, s25, s0
	s_add_u32 s19, s1, s0
	s_addc_u32 s17, 0, s17
	s_mul_i32 s0, s34, s17
	s_mul_hi_u32 s1, s34, s19
	s_add_i32 s0, s1, s0
	s_mul_i32 s1, s35, s19
	s_add_i32 s31, s0, s1
	s_mul_i32 s1, s34, s19
	v_mov_b32_e32 v4, s1
	s_sub_i32 s0, s25, s31
	v_sub_co_u32_e32 v4, vcc, s24, v4
	s_cmp_lg_u64 vcc, 0
	s_subb_u32 s33, s0, s35
	v_subrev_co_u32_e64 v6, s[0:1], s34, v4
	s_cmp_lg_u64 s[0:1], 0
	s_subb_u32 s0, s33, 0
	s_cmp_ge_u32 s0, s35
	v_readfirstlane_b32 s33, v6
	s_cselect_b32 s1, -1, 0
	s_cmp_ge_u32 s33, s34
	s_cselect_b32 s33, -1, 0
	s_cmp_eq_u32 s0, s35
	s_cselect_b32 s0, s33, s1
	s_add_u32 s1, s19, 1
	s_addc_u32 s33, s17, 0
	s_add_u32 s36, s19, 2
	s_addc_u32 s37, s17, 0
	s_cmp_lg_u32 s0, 0
	s_cselect_b32 s0, s36, s1
	s_cselect_b32 s1, s37, s33
	s_cmp_lg_u64 vcc, 0
	s_subb_u32 s31, s25, s31
	s_cmp_ge_u32 s31, s35
	v_readfirstlane_b32 s36, v4
	s_cselect_b32 s33, -1, 0
	s_cmp_ge_u32 s36, s34
	s_cselect_b32 s36, -1, 0
	s_cmp_eq_u32 s31, s35
	s_cselect_b32 s31, s36, s33
	s_cmp_lg_u32 s31, 0
	s_cselect_b32 s1, s1, s17
	s_cselect_b32 s0, s0, s19
	s_cbranch_execnz .LBB0_6
	s_branch .LBB0_10
.LBB0_9:                                ;   in Loop: Header=BB0_7 Depth=1
                                        ; implicit-def: $sgpr0_sgpr1
.LBB0_10:                               ;   in Loop: Header=BB0_7 Depth=1
	v_cvt_f32_u32_e32 v4, s34
	s_sub_i32 s0, 0, s34
	v_rcp_iflag_f32_e32 v4, v4
	v_mul_f32_e32 v4, 0x4f7ffffe, v4
	v_cvt_u32_f32_e32 v4, v4
	v_readfirstlane_b32 s1, v4
	s_mul_i32 s0, s0, s1
	s_mul_hi_u32 s0, s1, s0
	s_add_i32 s1, s1, s0
	s_mul_hi_u32 s0, s24, s1
	s_mul_i32 s17, s0, s34
	s_sub_i32 s17, s24, s17
	s_add_i32 s1, s0, 1
	s_sub_i32 s19, s17, s34
	s_cmp_ge_u32 s17, s34
	s_cselect_b32 s0, s1, s0
	s_cselect_b32 s17, s19, s17
	s_add_i32 s1, s0, 1
	s_cmp_ge_u32 s17, s34
	s_cselect_b32 s0, s1, s0
	s_mov_b32 s1, s30
	s_branch .LBB0_6
.LBB0_11:
	v_mov_b32_e32 v1, s24
	v_mov_b32_e32 v2, s25
	s_branch .LBB0_14
.LBB0_12:
	v_mov_b32_e32 v1, s2
	v_mov_b32_e32 v2, s3
	v_cmp_lt_u64_e32 vcc, s[6:7], v[1:2]
	v_mov_b32_e32 v1, 0
	v_mov_b32_e32 v2, 0
	s_cbranch_vccnz .LBB0_14
; %bb.13:
	v_cvt_f32_u32_e32 v1, s2
	s_sub_i32 s0, 0, s2
	v_rcp_iflag_f32_e32 v1, v1
	v_mul_f32_e32 v1, 0x4f7ffffe, v1
	v_cvt_u32_f32_e32 v1, v1
	v_mul_lo_u32 v2, s0, v1
	v_mul_hi_u32 v2, v1, v2
	v_add_u32_e32 v1, v1, v2
	v_mul_hi_u32 v1, s6, v1
	v_mul_lo_u32 v2, v1, s2
	v_add_u32_e32 v3, 1, v1
	v_sub_u32_e32 v2, s6, v2
	v_subrev_u32_e32 v4, s2, v2
	v_cmp_le_u32_e32 vcc, s2, v2
	v_cndmask_b32_e32 v2, v2, v4, vcc
	v_cndmask_b32_e32 v1, v1, v3, vcc
	v_add_u32_e32 v3, 1, v1
	v_cmp_le_u32_e32 vcc, s2, v2
	v_cndmask_b32_e32 v1, v1, v3, vcc
.LBB0_14:
	s_lshl_b64 s[0:1], s[10:11], 3
	s_add_u32 s0, s14, s0
	s_addc_u32 s1, s15, s1
	s_load_dword s0, s[0:1], 0x0
	v_mov_b32_e32 v6, s22
	v_and_b32_e32 v8, 7, v0
	v_mov_b32_e32 v7, s23
	v_mov_b32_e32 v4, s5
	s_waitcnt lgkmcnt(0)
	v_mul_lo_u32 v1, s0, v1
	s_add_u32 s0, s4, 8
	s_addc_u32 s1, s5, 0
	v_cmp_le_u64_e32 vcc, s[0:1], v[6:7]
	v_add_u32_e32 v6, v1, v5
	v_mad_u64_u32 v[1:2], s[0:1], s18, v8, 0
	s_movk_i32 s0, 0x9f
	v_or_b32_e32 v3, s4, v8
	v_cmp_lt_u32_e64 s[4:5], s0, v0
	s_movk_i32 s0, 0xa0
	v_lshrrev_b32_e32 v5, 3, v0
	v_cmp_gt_u32_e64 s[2:3], s0, v0
	v_cmp_gt_u64_e64 s[0:1], s[22:23], v[3:4]
	v_mul_lo_u32 v2, s16, v5
	v_cndmask_b32_e64 v7, 0, 1, s[2:3]
	v_cndmask_b32_e64 v4, 0, 1, s[0:1]
	s_or_b64 s[4:5], s[4:5], vcc
	v_cndmask_b32_e64 v4, v4, v7, s[4:5]
	v_and_b32_e32 v4, 1, v4
	v_add_lshl_u32 v7, v1, v2, 2
	v_lshlrev_b32_e32 v2, 2, v6
	v_cmp_eq_u32_e64 s[4:5], 1, v4
	v_add_u32_e32 v6, 20, v5
	v_cndmask_b32_e64 v4, -1, v7, s[4:5]
	v_mul_lo_u32 v6, s16, v6
	v_add_u32_e32 v7, 40, v5
	v_add_u32_e32 v9, 60, v5
	;; [unrolled: 1-line block ×3, first 2 shown]
	v_mul_lo_u32 v7, s16, v7
	v_mul_lo_u32 v9, s16, v9
	;; [unrolled: 1-line block ×3, first 2 shown]
	v_add_lshl_u32 v6, v1, v6, 2
	s_mov_b32 s11, 0x20000
	s_mov_b32 s10, -2
	v_readfirstlane_b32 s6, v2
	v_cndmask_b32_e64 v6, -1, v6, s[4:5]
	v_add_lshl_u32 v7, v1, v7, 2
	v_add_lshl_u32 v9, v1, v9, 2
	;; [unrolled: 1-line block ×3, first 2 shown]
	v_cndmask_b32_e64 v7, -1, v7, s[4:5]
	v_cndmask_b32_e64 v9, -1, v9, s[4:5]
	v_cndmask_b32_e64 v10, -1, v10, s[4:5]
	buffer_load_dword v16, v6, s[8:11], s6 offen
	buffer_load_dword v17, v7, s[8:11], s6 offen
	;; [unrolled: 1-line block ×5, first 2 shown]
	s_mov_b32 s4, 0x5040100
	s_mov_b32 s5, 0x7060302
	s_movk_i32 s6, 0x3b9c
	s_mov_b32 s7, 0xffff
	s_movk_i32 s10, 0x38b4
	s_movk_i32 s11, 0x34f2
	s_waitcnt vmcnt(3)
	v_perm_b32 v14, v17, v16, s4
	v_perm_b32 v12, v17, v16, s5
	s_waitcnt vmcnt(1)
	v_perm_b32 v15, v18, v19, s4
	v_perm_b32 v13, v18, v19, s5
	v_perm_b32 v4, v16, v17, s4
	v_perm_b32 v7, v19, v18, s4
	v_pk_add_f16 v9, v12, v13 neg_lo:[0,1] neg_hi:[0,1]
	v_pk_add_f16 v10, v14, v15
	s_waitcnt vmcnt(0)
	v_add_f16_e32 v6, v16, v11
	v_pk_add_f16 v4, v4, v14 neg_lo:[0,1] neg_hi:[0,1]
	v_pk_add_f16 v7, v7, v15 neg_lo:[0,1] neg_hi:[0,1]
	v_pk_fma_f16 v10, v10, -0.5, v11 op_sel_hi:[1,0,0]
	v_pk_mul_f16 v16, v9, s6 op_sel_hi:[1,0]
	v_pk_add_f16 v4, v4, v7
	v_pk_add_f16 v7, v10, v16 op_sel:[0,1] op_sel_hi:[1,0] neg_lo:[0,1] neg_hi:[0,1]
	v_pk_add_f16 v10, v10, v16 op_sel:[0,1] op_sel_hi:[1,0]
	v_add_f16_e32 v6, v6, v17
	v_bfi_b32 v16, s7, v10, v7
	v_bfi_b32 v7, s7, v7, v10
	v_add_f16_e32 v6, v6, v18
	v_pk_fma_f16 v10, v9, s10, v16 op_sel_hi:[1,0,1] neg_lo:[1,0,0] neg_hi:[1,0,0]
	v_pk_fma_f16 v7, v9, s10, v7 op_sel_hi:[1,0,1]
	v_add_f16_e32 v6, v6, v19
	v_pk_fma_f16 v10, v4, s11, v10 op_sel_hi:[1,0,1]
	v_pk_fma_f16 v9, v4, s11, v7 op_sel_hi:[1,0,1]
	v_lshlrev_b32_e32 v4, 1, v8
	s_and_saveexec_b64 s[4:5], s[2:3]
	s_cbranch_execz .LBB0_16
; %bb.15:
	v_mul_u32_u24_e32 v7, 0x50, v5
	v_add3_u32 v7, 0, v7, v4
	ds_write_b16 v7, v6
	ds_write_b16_d16_hi v7, v10 offset:16
	ds_write_b16 v7, v10 offset:32
	ds_write_b16 v7, v9 offset:48
	ds_write_b16_d16_hi v7, v9 offset:64
.LBB0_16:
	s_or_b64 exec, exec, s[4:5]
	v_lshlrev_b32_e32 v7, 4, v5
	s_waitcnt lgkmcnt(0)
	s_barrier
	s_and_saveexec_b64 s[4:5], s[2:3]
	s_cbranch_execz .LBB0_18
; %bb.17:
	v_add3_u32 v6, 0, v7, v4
	ds_read_u16 v8, v6 offset:320
	ds_read_u16 v9, v6 offset:640
	;; [unrolled: 1-line block ×4, first 2 shown]
	ds_read_u16 v6, v6
	s_mov_b32 s6, 0x5040100
	s_waitcnt lgkmcnt(3)
	v_perm_b32 v10, v8, v9, s6
	s_waitcnt lgkmcnt(1)
	v_perm_b32 v9, v17, v16, s6
.LBB0_18:
	s_or_b64 exec, exec, s[4:5]
	v_add_f16_sdwa v8, v12, v11 dst_sel:DWORD dst_unused:UNUSED_PAD src0_sel:DWORD src1_sel:WORD_1
	v_add_f16_sdwa v8, v8, v12 dst_sel:DWORD dst_unused:UNUSED_PAD src0_sel:DWORD src1_sel:WORD_1
	;; [unrolled: 1-line block ×3, first 2 shown]
	v_pk_add_f16 v14, v14, v15 neg_lo:[0,1] neg_hi:[0,1]
	v_pk_add_f16 v15, v12, v13
	s_movk_i32 s4, 0x38b4
	v_add_f16_e32 v8, v8, v13
	v_pk_fma_f16 v11, v15, -0.5, v11 op_sel:[0,0,1] op_sel_hi:[1,0,1]
	v_pk_mul_f16 v15, v14, s4 op_sel_hi:[1,0]
	v_pk_add_f16 v12, v12, v12 op_sel:[0,1] op_sel_hi:[1,0] neg_lo:[0,1] neg_hi:[0,1]
	v_pk_add_f16 v13, v13, v13 op_sel:[0,1] op_sel_hi:[1,0] neg_lo:[0,1] neg_hi:[0,1]
	s_movk_i32 s4, 0x3b9c
	v_pk_add_f16 v12, v12, v13
	v_pk_fma_f16 v13, v14, s4, v11 op_sel:[0,0,1] op_sel_hi:[1,0,0] neg_lo:[1,0,0] neg_hi:[1,0,0]
	v_pk_fma_f16 v11, v14, s4, v11 op_sel:[0,0,1] op_sel_hi:[1,0,0]
	s_mov_b32 s4, 0xffff
	v_bfi_b32 v14, s4, v13, v11
	v_bfi_b32 v11, s4, v11, v13
	v_pk_add_f16 v16, v14, v15 op_sel:[0,1] op_sel_hi:[1,0] neg_lo:[0,1] neg_hi:[0,1]
	v_pk_add_f16 v11, v15, v11 op_sel:[1,0] op_sel_hi:[0,1]
	s_movk_i32 s4, 0x34f2
	v_pk_fma_f16 v14, v12, s4, v11 op_sel_hi:[1,0,1]
	v_pk_fma_f16 v11, v12, s4, v16 op_sel_hi:[1,0,1]
	s_waitcnt lgkmcnt(0)
	s_barrier
	s_and_saveexec_b64 s[4:5], s[2:3]
	s_cbranch_execz .LBB0_20
; %bb.19:
	v_mul_u32_u24_e32 v12, 0x50, v5
	v_add3_u32 v12, 0, v12, v4
	ds_write_b16 v12, v8
	ds_write_b16 v12, v14 offset:16
	ds_write_b16_d16_hi v12, v14 offset:32
	ds_write_b16_d16_hi v12, v11 offset:48
	ds_write_b16 v12, v11 offset:64
.LBB0_20:
	s_or_b64 exec, exec, s[4:5]
	s_waitcnt lgkmcnt(0)
	s_barrier
	s_and_saveexec_b64 s[4:5], s[2:3]
	s_cbranch_execz .LBB0_22
; %bb.21:
	v_add3_u32 v8, 0, v7, v4
	ds_read_u16 v11, v8 offset:960
	ds_read_u16 v12, v8 offset:1280
	;; [unrolled: 1-line block ×4, first 2 shown]
	ds_read_u16 v8, v8
	s_mov_b32 s6, 0x5040100
	s_waitcnt lgkmcnt(3)
	v_perm_b32 v11, v11, v12, s6
	s_waitcnt lgkmcnt(1)
	v_perm_b32 v14, v14, v13, s6
.LBB0_22:
	s_or_b64 exec, exec, s[4:5]
	s_mov_b32 s4, 0x33333334
	v_mul_hi_u32 v12, v5, s4
	v_mul_u32_u24_e32 v12, 5, v12
	v_sub_u32_e32 v12, v5, v12
	v_lshlrev_b32_e32 v13, 4, v12
	global_load_dwordx4 v[18:21], v13, s[20:21]
	v_lshrrev_b32_e32 v13, 16, v10
	s_waitcnt vmcnt(0) lgkmcnt(0)
	s_barrier
	v_mul_f16_sdwa v15, v14, v18 dst_sel:DWORD dst_unused:UNUSED_PAD src0_sel:DWORD src1_sel:WORD_1
	v_fma_f16 v15, v13, v18, v15
	v_mul_f16_sdwa v13, v13, v18 dst_sel:DWORD dst_unused:UNUSED_PAD src0_sel:DWORD src1_sel:WORD_1
	v_fma_f16 v13, v14, v18, -v13
	v_lshrrev_b32_e32 v14, 16, v14
	v_mul_f16_sdwa v16, v14, v19 dst_sel:DWORD dst_unused:UNUSED_PAD src0_sel:DWORD src1_sel:WORD_1
	v_fma_f16 v17, v10, v19, v16
	v_mul_f16_sdwa v10, v10, v19 dst_sel:DWORD dst_unused:UNUSED_PAD src0_sel:DWORD src1_sel:WORD_1
	v_fma_f16 v14, v14, v19, -v10
	v_lshrrev_b32_e32 v10, 16, v11
	;; [unrolled: 5-line block ×3, first 2 shown]
	v_mul_f16_sdwa v10, v11, v21 dst_sel:DWORD dst_unused:UNUSED_PAD src0_sel:DWORD src1_sel:WORD_1
	v_fma_f16 v20, v9, v21, v10
	v_mul_f16_sdwa v9, v9, v21 dst_sel:DWORD dst_unused:UNUSED_PAD src0_sel:DWORD src1_sel:WORD_1
	v_fma_f16 v18, v11, v21, -v9
	s_and_saveexec_b64 s[4:5], s[2:3]
	s_cbranch_execz .LBB0_24
; %bb.23:
	v_sub_f16_e32 v9, v17, v15
	v_sub_f16_e32 v10, v19, v20
	v_add_f16_e32 v9, v9, v10
	v_add_f16_e32 v10, v15, v20
	v_fma_f16 v10, v10, -0.5, v6
	s_mov_b32 s6, 0xbb9c
	v_sub_f16_e32 v21, v14, v16
	s_movk_i32 s11, 0x3b9c
	s_movk_i32 s7, 0x38b4
	v_sub_f16_e32 v11, v13, v18
	v_fma_f16 v22, v21, s6, v10
	v_fma_f16 v10, v21, s11, v10
	s_mov_b32 s12, 0xb8b4
	v_fma_f16 v22, v11, s7, v22
	s_movk_i32 s10, 0x34f2
	v_fma_f16 v10, v11, s12, v10
	v_fma_f16 v22, v9, s10, v22
	;; [unrolled: 1-line block ×3, first 2 shown]
	v_sub_f16_e32 v10, v15, v17
	v_sub_f16_e32 v23, v20, v19
	v_add_f16_e32 v10, v10, v23
	v_add_f16_e32 v23, v17, v19
	v_fma_f16 v23, v23, -0.5, v6
	v_fma_f16 v24, v11, s11, v23
	v_fma_f16 v11, v11, s6, v23
	;; [unrolled: 1-line block ×6, first 2 shown]
	v_mul_lo_u16_e32 v11, 52, v5
	v_mov_b32_e32 v23, 25
	v_add_f16_e32 v6, v6, v15
	v_mul_lo_u16_sdwa v11, v11, v23 dst_sel:DWORD dst_unused:UNUSED_PAD src0_sel:BYTE_1 src1_sel:DWORD
	v_add_f16_e32 v6, v6, v17
	v_add_f16_e32 v6, v6, v19
	v_add_lshl_u32 v11, v12, v11, 4
	v_add_f16_e32 v6, v6, v20
	v_add3_u32 v11, 0, v11, v4
	ds_write_b16 v11, v6
	ds_write_b16 v11, v10 offset:80
	ds_write_b16 v11, v9 offset:160
	;; [unrolled: 1-line block ×4, first 2 shown]
.LBB0_24:
	s_or_b64 exec, exec, s[4:5]
	v_add3_u32 v11, 0, v7, v4
	s_waitcnt lgkmcnt(0)
	s_barrier
	ds_read_u16 v6, v11
	ds_read_u16 v10, v11 offset:400
	ds_read_u16 v9, v11 offset:800
	ds_read_u16 v7, v11 offset:1200
	s_waitcnt lgkmcnt(0)
	s_barrier
	s_and_saveexec_b64 s[4:5], s[2:3]
	s_cbranch_execz .LBB0_26
; %bb.25:
	v_add_f16_e32 v22, v14, v16
	v_fma_f16 v22, v22, -0.5, v8
	v_sub_f16_e32 v15, v15, v20
	s_movk_i32 s2, 0x3b9c
	v_fma_f16 v20, v15, s2, v22
	v_sub_f16_e32 v17, v17, v19
	s_movk_i32 s3, 0x38b4
	s_mov_b32 s7, 0xbb9c
	v_fma_f16 v19, v17, s3, v20
	v_sub_f16_e32 v20, v13, v14
	v_sub_f16_e32 v23, v18, v16
	v_fma_f16 v22, v15, s7, v22
	s_mov_b32 s10, 0xb8b4
	v_add_f16_e32 v20, v20, v23
	s_movk_i32 s6, 0x34f2
	v_fma_f16 v22, v17, s10, v22
	v_fma_f16 v19, v20, s6, v19
	;; [unrolled: 1-line block ×3, first 2 shown]
	v_add_f16_e32 v22, v13, v18
	v_add_f16_e32 v21, v8, v13
	v_fma_f16 v8, v22, -0.5, v8
	v_add_f16_e32 v21, v21, v14
	v_fma_f16 v22, v17, s7, v8
	v_sub_f16_e32 v13, v14, v13
	v_sub_f16_e32 v14, v16, v18
	v_fma_f16 v8, v17, s2, v8
	v_fma_f16 v22, v15, s3, v22
	v_add_f16_e32 v13, v13, v14
	v_fma_f16 v8, v15, s10, v8
	v_fma_f16 v14, v13, s6, v22
	;; [unrolled: 1-line block ×3, first 2 shown]
	v_mul_lo_u16_e32 v13, 52, v5
	v_mov_b32_e32 v15, 25
	v_mul_lo_u16_sdwa v13, v13, v15 dst_sel:DWORD dst_unused:UNUSED_PAD src0_sel:BYTE_1 src1_sel:DWORD
	v_add_f16_e32 v21, v21, v16
	v_add_lshl_u32 v12, v12, v13, 4
	v_add_f16_e32 v21, v21, v18
	v_add3_u32 v4, 0, v12, v4
	ds_write_b16 v4, v21
	ds_write_b16 v4, v19 offset:80
	ds_write_b16 v4, v14 offset:160
	;; [unrolled: 1-line block ×4, first 2 shown]
.LBB0_26:
	s_or_b64 exec, exec, s[4:5]
	s_mov_b32 s2, 0xa3d70a4
	v_mul_hi_u32 v4, v5, s2
	s_waitcnt lgkmcnt(0)
	s_barrier
	v_mul_u32_u24_e32 v4, 25, v4
	v_sub_u32_e32 v4, v5, v4
	v_mul_u32_u24_e32 v5, 3, v4
	v_lshlrev_b32_e32 v5, 2, v5
	global_load_dwordx3 v[12:14], v5, s[20:21] offset:80
	ds_read_u16 v5, v11 offset:800
	ds_read_u16 v8, v11 offset:1200
	ds_read_u16 v16, v11 offset:400
	ds_read_u16 v11, v11
	v_mul_lo_u32 v15, v4, v3
	v_mul_lo_u32 v3, v3, 25
	s_add_i32 s2, 0, 0x640
	s_or_b64 vcc, vcc, s[0:1]
	v_and_b32_e32 v17, 63, v15
	v_lshrrev_b32_e32 v18, 4, v15
	v_lshrrev_b32_e32 v19, 10, v15
	v_add_u32_e32 v15, v15, v3
	v_and_b32_e32 v20, 63, v15
	v_and_b32_e32 v18, 0xfc, v18
	;; [unrolled: 1-line block ×3, first 2 shown]
	v_lshrrev_b32_e32 v21, 4, v15
	v_lshl_add_u32 v17, v17, 2, 0
	v_readfirstlane_b32 s0, v2
	s_mov_b32 s11, 0x20000
	s_mov_b32 s10, -2
	s_waitcnt vmcnt(0) lgkmcnt(1)
	v_mul_f16_sdwa v22, v16, v12 dst_sel:DWORD dst_unused:UNUSED_PAD src0_sel:DWORD src1_sel:WORD_1
	v_fma_f16 v22, v10, v12, v22
	v_mul_f16_sdwa v10, v10, v12 dst_sel:DWORD dst_unused:UNUSED_PAD src0_sel:DWORD src1_sel:WORD_1
	v_fma_f16 v10, v16, v12, -v10
	v_mul_f16_sdwa v12, v5, v13 dst_sel:DWORD dst_unused:UNUSED_PAD src0_sel:DWORD src1_sel:WORD_1
	v_fma_f16 v12, v9, v13, v12
	v_mul_f16_sdwa v9, v9, v13 dst_sel:DWORD dst_unused:UNUSED_PAD src0_sel:DWORD src1_sel:WORD_1
	v_fma_f16 v5, v5, v13, -v9
	v_mul_f16_sdwa v9, v8, v14 dst_sel:DWORD dst_unused:UNUSED_PAD src0_sel:DWORD src1_sel:WORD_1
	v_fma_f16 v9, v7, v14, v9
	v_mul_f16_sdwa v7, v7, v14 dst_sel:DWORD dst_unused:UNUSED_PAD src0_sel:DWORD src1_sel:WORD_1
	v_add_u32_e32 v13, v15, v3
	v_fma_f16 v7, v8, v14, -v7
	v_lshrrev_b32_e32 v8, 10, v15
	v_lshl_add_u32 v16, v20, 2, 0
	v_lshrrev_b32_e32 v20, 4, v13
	v_add_u32_e32 v14, s2, v18
	v_add_u32_e32 v15, s2, v19
	v_and_b32_e32 v18, 0xfc, v21
	v_and_b32_e32 v8, 0xfc, v8
	;; [unrolled: 1-line block ×4, first 2 shown]
	v_add_u32_e32 v18, s2, v18
	v_add_u32_e32 v8, s2, v8
	v_lshl_add_u32 v19, v19, 2, 0
	v_add_u32_e32 v20, s2, v20
	ds_read_b32 v17, v17 offset:1600
	ds_read_b32 v14, v14 offset:256
	;; [unrolled: 1-line block ×8, first 2 shown]
	s_waitcnt lgkmcnt(7)
	v_lshrrev_b32_e32 v21, 16, v17
	s_waitcnt lgkmcnt(6)
	v_mul_f16_sdwa v23, v21, v14 dst_sel:DWORD dst_unused:UNUSED_PAD src0_sel:DWORD src1_sel:WORD_1
	v_fma_f16 v23, v17, v14, -v23
	v_mul_f16_sdwa v17, v17, v14 dst_sel:DWORD dst_unused:UNUSED_PAD src0_sel:DWORD src1_sel:WORD_1
	v_fma_f16 v14, v21, v14, v17
	s_waitcnt lgkmcnt(4)
	v_lshrrev_b32_e32 v17, 16, v16
	s_waitcnt lgkmcnt(3)
	v_mul_f16_sdwa v21, v17, v18 dst_sel:DWORD dst_unused:UNUSED_PAD src0_sel:DWORD src1_sel:WORD_1
	v_fma_f16 v21, v16, v18, -v21
	v_mul_f16_sdwa v16, v16, v18 dst_sel:DWORD dst_unused:UNUSED_PAD src0_sel:DWORD src1_sel:WORD_1
	v_fma_f16 v16, v17, v18, v16
	v_mul_f16_sdwa v17, v14, v15 dst_sel:DWORD dst_unused:UNUSED_PAD src0_sel:DWORD src1_sel:WORD_1
	v_mul_f16_sdwa v18, v23, v15 dst_sel:DWORD dst_unused:UNUSED_PAD src0_sel:DWORD src1_sel:WORD_1
	v_fma_f16 v17, v15, v23, -v17
	v_fma_f16 v14, v15, v14, v18
	s_waitcnt lgkmcnt(2)
	v_mul_f16_sdwa v15, v16, v8 dst_sel:DWORD dst_unused:UNUSED_PAD src0_sel:DWORD src1_sel:WORD_1
	v_sub_f16_e32 v12, v6, v12
	v_sub_f16_e32 v5, v11, v5
	;; [unrolled: 1-line block ×4, first 2 shown]
	v_mul_f16_sdwa v18, v21, v8 dst_sel:DWORD dst_unused:UNUSED_PAD src0_sel:DWORD src1_sel:WORD_1
	v_fma_f16 v15, v8, v21, -v15
	v_fma_f16 v6, v6, 2.0, -v12
	v_fma_f16 v11, v11, 2.0, -v5
	;; [unrolled: 1-line block ×4, first 2 shown]
	v_sub_f16_e32 v21, v6, v21
	v_sub_f16_e32 v10, v11, v10
	v_add_f16_e32 v7, v12, v7
	v_sub_f16_e32 v9, v5, v9
	v_fma_f16 v6, v6, 2.0, -v21
	v_fma_f16 v11, v11, 2.0, -v10
	;; [unrolled: 1-line block ×4, first 2 shown]
	v_mul_f16_e32 v22, v11, v14
	v_mul_f16_e32 v14, v6, v14
	v_fma_f16 v8, v8, v16, v18
	v_fma_f16 v11, v11, v17, -v14
	v_mul_f16_e32 v14, v5, v8
	v_mul_f16_e32 v8, v12, v8
	v_fma_f16 v14, v12, v15, v14
	v_fma_f16 v5, v5, v15, -v8
	s_waitcnt lgkmcnt(1)
	v_lshrrev_b32_e32 v8, 16, v19
	s_waitcnt lgkmcnt(0)
	v_mul_f16_sdwa v15, v19, v20 dst_sel:DWORD dst_unused:UNUSED_PAD src0_sel:DWORD src1_sel:WORD_1
	v_mul_f16_sdwa v12, v8, v20 dst_sel:DWORD dst_unused:UNUSED_PAD src0_sel:DWORD src1_sel:WORD_1
	v_fma_f16 v8, v8, v20, v15
	v_lshrrev_b32_e32 v15, 10, v13
	v_and_b32_e32 v15, 0xfc, v15
	v_add_u32_e32 v15, s2, v15
	ds_read_b32 v15, v15 offset:512
	v_add_u32_e32 v3, v13, v3
	v_and_b32_e32 v13, 63, v3
	v_lshrrev_b32_e32 v16, 4, v3
	v_lshrrev_b32_e32 v3, 10, v3
	v_and_b32_e32 v16, 0xfc, v16
	v_and_b32_e32 v3, 0xfc, v3
	v_fma_f16 v6, v6, v17, v22
	v_fma_f16 v12, v19, v20, -v12
	v_lshl_add_u32 v13, v13, 2, 0
	v_add_u32_e32 v16, s2, v16
	v_add_u32_e32 v3, s2, v3
	s_waitcnt lgkmcnt(0)
	v_mul_f16_sdwa v17, v8, v15 dst_sel:DWORD dst_unused:UNUSED_PAD src0_sel:DWORD src1_sel:WORD_1
	ds_read_b32 v13, v13 offset:1600
	ds_read_b32 v16, v16 offset:256
	;; [unrolled: 1-line block ×3, first 2 shown]
	v_fma_f16 v17, v15, v12, -v17
	v_mul_f16_sdwa v12, v12, v15 dst_sel:DWORD dst_unused:UNUSED_PAD src0_sel:DWORD src1_sel:WORD_1
	v_fma_f16 v8, v15, v8, v12
	s_mov_b32 s2, 0x147ae15
	v_mul_f16_e32 v12, v10, v8
	v_mul_f16_e32 v8, v21, v8
	v_mul_hi_u32 v0, v0, s2
	v_fma_f16 v8, v10, v17, -v8
	s_waitcnt lgkmcnt(2)
	v_lshrrev_b32_e32 v10, 16, v13
	s_waitcnt lgkmcnt(1)
	v_mul_f16_sdwa v15, v10, v16 dst_sel:DWORD dst_unused:UNUSED_PAD src0_sel:DWORD src1_sel:WORD_1
	v_fma_f16 v15, v13, v16, -v15
	v_mul_f16_sdwa v13, v13, v16 dst_sel:DWORD dst_unused:UNUSED_PAD src0_sel:DWORD src1_sel:WORD_1
	s_movk_i32 s2, 0x64
	v_fma_f16 v10, v10, v16, v13
	v_mad_u32_u24 v0, v0, s2, v4
	s_waitcnt lgkmcnt(0)
	v_mul_f16_sdwa v13, v10, v3 dst_sel:DWORD dst_unused:UNUSED_PAD src0_sel:DWORD src1_sel:WORD_1
	v_mul_lo_u32 v4, s16, v0
	v_fma_f16 v13, v3, v15, -v13
	v_mul_f16_sdwa v15, v15, v3 dst_sel:DWORD dst_unused:UNUSED_PAD src0_sel:DWORD src1_sel:WORD_1
	v_fma_f16 v3, v3, v10, v15
	v_mul_f16_e32 v10, v9, v3
	v_fma_f16 v10, v7, v13, v10
	v_mul_f16_e32 v3, v7, v3
	v_lshlrev_b32_e32 v7, 16, v11
	v_add_lshl_u32 v4, v1, v4, 2
	v_add_u32_e32 v2, 25, v0
	v_or_b32_sdwa v6, v7, v6 dst_sel:DWORD dst_unused:UNUSED_PAD src0_sel:DWORD src1_sel:WORD_0
	v_cndmask_b32_e32 v4, -1, v4, vcc
	v_mul_lo_u32 v2, s16, v2
	buffer_store_dword v6, v4, s[8:11], s0 offen
	v_lshlrev_b32_e32 v4, 16, v5
	v_add_u32_e32 v5, 50, v0
	v_mul_lo_u32 v5, s16, v5
	v_add_u32_e32 v0, 0x4b, v0
	v_add_lshl_u32 v2, v1, v2, 2
	v_mul_lo_u32 v0, s16, v0
	v_or_b32_sdwa v4, v4, v14 dst_sel:DWORD dst_unused:UNUSED_PAD src0_sel:DWORD src1_sel:WORD_0
	v_cndmask_b32_e32 v2, -1, v2, vcc
	v_fma_f16 v12, v21, v17, v12
	buffer_store_dword v4, v2, s[8:11], s0 offen
	v_lshlrev_b32_e32 v2, 16, v8
	v_add_lshl_u32 v4, v1, v5, 2
	v_fma_f16 v3, v9, v13, -v3
	v_or_b32_sdwa v2, v2, v12 dst_sel:DWORD dst_unused:UNUSED_PAD src0_sel:DWORD src1_sel:WORD_0
	v_cndmask_b32_e32 v4, -1, v4, vcc
	buffer_store_dword v2, v4, s[8:11], s0 offen
	v_lshlrev_b32_e32 v2, 16, v3
	v_add_lshl_u32 v0, v1, v0, 2
	v_or_b32_sdwa v2, v2, v10 dst_sel:DWORD dst_unused:UNUSED_PAD src0_sel:DWORD src1_sel:WORD_0
	v_cndmask_b32_e32 v0, -1, v0, vcc
	buffer_store_dword v2, v0, s[8:11], s0 offen
	s_endpgm
	.section	.rodata,"a",@progbits
	.p2align	6, 0x0
	.amdhsa_kernel fft_rtc_back_len100_factors_5_5_4_wgs_200_tpt_25_halfLds_half_ip_CI_sbcc_twdbase6_3step_dirReg_intrinsicReadWrite
		.amdhsa_group_segment_fixed_size 0
		.amdhsa_private_segment_fixed_size 0
		.amdhsa_kernarg_size 96
		.amdhsa_user_sgpr_count 6
		.amdhsa_user_sgpr_private_segment_buffer 1
		.amdhsa_user_sgpr_dispatch_ptr 0
		.amdhsa_user_sgpr_queue_ptr 0
		.amdhsa_user_sgpr_kernarg_segment_ptr 1
		.amdhsa_user_sgpr_dispatch_id 0
		.amdhsa_user_sgpr_flat_scratch_init 0
		.amdhsa_user_sgpr_private_segment_size 0
		.amdhsa_uses_dynamic_stack 0
		.amdhsa_system_sgpr_private_segment_wavefront_offset 0
		.amdhsa_system_sgpr_workgroup_id_x 1
		.amdhsa_system_sgpr_workgroup_id_y 0
		.amdhsa_system_sgpr_workgroup_id_z 0
		.amdhsa_system_sgpr_workgroup_info 0
		.amdhsa_system_vgpr_workitem_id 0
		.amdhsa_next_free_vgpr 25
		.amdhsa_next_free_sgpr 39
		.amdhsa_reserve_vcc 1
		.amdhsa_reserve_flat_scratch 0
		.amdhsa_float_round_mode_32 0
		.amdhsa_float_round_mode_16_64 0
		.amdhsa_float_denorm_mode_32 3
		.amdhsa_float_denorm_mode_16_64 3
		.amdhsa_dx10_clamp 1
		.amdhsa_ieee_mode 1
		.amdhsa_fp16_overflow 0
		.amdhsa_exception_fp_ieee_invalid_op 0
		.amdhsa_exception_fp_denorm_src 0
		.amdhsa_exception_fp_ieee_div_zero 0
		.amdhsa_exception_fp_ieee_overflow 0
		.amdhsa_exception_fp_ieee_underflow 0
		.amdhsa_exception_fp_ieee_inexact 0
		.amdhsa_exception_int_div_zero 0
	.end_amdhsa_kernel
	.text
.Lfunc_end0:
	.size	fft_rtc_back_len100_factors_5_5_4_wgs_200_tpt_25_halfLds_half_ip_CI_sbcc_twdbase6_3step_dirReg_intrinsicReadWrite, .Lfunc_end0-fft_rtc_back_len100_factors_5_5_4_wgs_200_tpt_25_halfLds_half_ip_CI_sbcc_twdbase6_3step_dirReg_intrinsicReadWrite
                                        ; -- End function
	.section	.AMDGPU.csdata,"",@progbits
; Kernel info:
; codeLenInByte = 4376
; NumSgprs: 43
; NumVgprs: 25
; ScratchSize: 0
; MemoryBound: 0
; FloatMode: 240
; IeeeMode: 1
; LDSByteSize: 0 bytes/workgroup (compile time only)
; SGPRBlocks: 5
; VGPRBlocks: 6
; NumSGPRsForWavesPerEU: 43
; NumVGPRsForWavesPerEU: 25
; Occupancy: 9
; WaveLimiterHint : 0
; COMPUTE_PGM_RSRC2:SCRATCH_EN: 0
; COMPUTE_PGM_RSRC2:USER_SGPR: 6
; COMPUTE_PGM_RSRC2:TRAP_HANDLER: 0
; COMPUTE_PGM_RSRC2:TGID_X_EN: 1
; COMPUTE_PGM_RSRC2:TGID_Y_EN: 0
; COMPUTE_PGM_RSRC2:TGID_Z_EN: 0
; COMPUTE_PGM_RSRC2:TIDIG_COMP_CNT: 0
	.type	__hip_cuid_8a4d13529f176250,@object ; @__hip_cuid_8a4d13529f176250
	.section	.bss,"aw",@nobits
	.globl	__hip_cuid_8a4d13529f176250
__hip_cuid_8a4d13529f176250:
	.byte	0                               ; 0x0
	.size	__hip_cuid_8a4d13529f176250, 1

	.ident	"AMD clang version 19.0.0git (https://github.com/RadeonOpenCompute/llvm-project roc-6.4.0 25133 c7fe45cf4b819c5991fe208aaa96edf142730f1d)"
	.section	".note.GNU-stack","",@progbits
	.addrsig
	.addrsig_sym __hip_cuid_8a4d13529f176250
	.amdgpu_metadata
---
amdhsa.kernels:
  - .args:
      - .actual_access:  read_only
        .address_space:  global
        .offset:         0
        .size:           8
        .value_kind:     global_buffer
      - .address_space:  global
        .offset:         8
        .size:           8
        .value_kind:     global_buffer
      - .offset:         16
        .size:           8
        .value_kind:     by_value
      - .actual_access:  read_only
        .address_space:  global
        .offset:         24
        .size:           8
        .value_kind:     global_buffer
      - .actual_access:  read_only
        .address_space:  global
        .offset:         32
        .size:           8
        .value_kind:     global_buffer
      - .offset:         40
        .size:           8
        .value_kind:     by_value
      - .actual_access:  read_only
        .address_space:  global
        .offset:         48
        .size:           8
        .value_kind:     global_buffer
      - .actual_access:  read_only
        .address_space:  global
        .offset:         56
        .size:           8
        .value_kind:     global_buffer
      - .offset:         64
        .size:           4
        .value_kind:     by_value
      - .actual_access:  read_only
        .address_space:  global
        .offset:         72
        .size:           8
        .value_kind:     global_buffer
      - .actual_access:  read_only
        .address_space:  global
        .offset:         80
        .size:           8
        .value_kind:     global_buffer
      - .address_space:  global
        .offset:         88
        .size:           8
        .value_kind:     global_buffer
    .group_segment_fixed_size: 0
    .kernarg_segment_align: 8
    .kernarg_segment_size: 96
    .language:       OpenCL C
    .language_version:
      - 2
      - 0
    .max_flat_workgroup_size: 200
    .name:           fft_rtc_back_len100_factors_5_5_4_wgs_200_tpt_25_halfLds_half_ip_CI_sbcc_twdbase6_3step_dirReg_intrinsicReadWrite
    .private_segment_fixed_size: 0
    .sgpr_count:     43
    .sgpr_spill_count: 0
    .symbol:         fft_rtc_back_len100_factors_5_5_4_wgs_200_tpt_25_halfLds_half_ip_CI_sbcc_twdbase6_3step_dirReg_intrinsicReadWrite.kd
    .uniform_work_group_size: 1
    .uses_dynamic_stack: false
    .vgpr_count:     25
    .vgpr_spill_count: 0
    .wavefront_size: 64
amdhsa.target:   amdgcn-amd-amdhsa--gfx906
amdhsa.version:
  - 1
  - 2
...

	.end_amdgpu_metadata
